;; amdgpu-corpus repo=ROCm/rocFFT kind=compiled arch=gfx906 opt=O3
	.text
	.amdgcn_target "amdgcn-amd-amdhsa--gfx906"
	.amdhsa_code_object_version 6
	.protected	fft_rtc_fwd_len143_factors_13_11_wgs_182_tpt_13_sp_ip_CI_unitstride_sbrr_dirReg ; -- Begin function fft_rtc_fwd_len143_factors_13_11_wgs_182_tpt_13_sp_ip_CI_unitstride_sbrr_dirReg
	.globl	fft_rtc_fwd_len143_factors_13_11_wgs_182_tpt_13_sp_ip_CI_unitstride_sbrr_dirReg
	.p2align	8
	.type	fft_rtc_fwd_len143_factors_13_11_wgs_182_tpt_13_sp_ip_CI_unitstride_sbrr_dirReg,@function
fft_rtc_fwd_len143_factors_13_11_wgs_182_tpt_13_sp_ip_CI_unitstride_sbrr_dirReg: ; @fft_rtc_fwd_len143_factors_13_11_wgs_182_tpt_13_sp_ip_CI_unitstride_sbrr_dirReg
; %bb.0:
	v_mul_u32_u24_e32 v1, 0x13b2, v0
	s_load_dwordx2 s[2:3], s[4:5], 0x50
	s_load_dwordx4 s[8:11], s[4:5], 0x0
	s_load_dwordx2 s[12:13], s[4:5], 0x18
	v_lshrrev_b32_e32 v1, 16, v1
	v_mad_u64_u32 v[11:12], s[0:1], s6, 14, v[1:2]
	v_mov_b32_e32 v3, 0
	s_waitcnt lgkmcnt(0)
	v_cmp_lt_u64_e64 s[0:1], s[10:11], 2
	v_mov_b32_e32 v12, v3
	v_mov_b32_e32 v1, 0
	;; [unrolled: 1-line block ×3, first 2 shown]
	s_and_b64 vcc, exec, s[0:1]
	v_mov_b32_e32 v2, 0
	v_mov_b32_e32 v8, v12
	s_cbranch_vccnz .LBB0_8
; %bb.1:
	s_load_dwordx2 s[0:1], s[4:5], 0x10
	s_add_u32 s6, s12, 8
	s_addc_u32 s7, s13, 0
	v_mov_b32_e32 v1, 0
	v_mov_b32_e32 v5, v11
	s_waitcnt lgkmcnt(0)
	s_add_u32 s16, s0, 8
	s_mov_b64 s[14:15], 1
	v_mov_b32_e32 v2, 0
	s_addc_u32 s17, s1, 0
	v_mov_b32_e32 v6, v12
.LBB0_2:                                ; =>This Inner Loop Header: Depth=1
	s_load_dwordx2 s[18:19], s[16:17], 0x0
                                        ; implicit-def: $vgpr7_vgpr8
	s_waitcnt lgkmcnt(0)
	v_or_b32_e32 v4, s19, v6
	v_cmp_ne_u64_e32 vcc, 0, v[3:4]
	s_and_saveexec_b64 s[0:1], vcc
	s_xor_b64 s[20:21], exec, s[0:1]
	s_cbranch_execz .LBB0_4
; %bb.3:                                ;   in Loop: Header=BB0_2 Depth=1
	v_cvt_f32_u32_e32 v4, s18
	v_cvt_f32_u32_e32 v7, s19
	s_sub_u32 s0, 0, s18
	s_subb_u32 s1, 0, s19
	v_mac_f32_e32 v4, 0x4f800000, v7
	v_rcp_f32_e32 v4, v4
	v_mul_f32_e32 v4, 0x5f7ffffc, v4
	v_mul_f32_e32 v7, 0x2f800000, v4
	v_trunc_f32_e32 v7, v7
	v_mac_f32_e32 v4, 0xcf800000, v7
	v_cvt_u32_f32_e32 v7, v7
	v_cvt_u32_f32_e32 v4, v4
	v_mul_lo_u32 v8, s0, v7
	v_mul_hi_u32 v9, s0, v4
	v_mul_lo_u32 v12, s1, v4
	v_mul_lo_u32 v10, s0, v4
	v_add_u32_e32 v8, v9, v8
	v_add_u32_e32 v8, v8, v12
	v_mul_hi_u32 v9, v4, v10
	v_mul_lo_u32 v12, v4, v8
	v_mul_hi_u32 v14, v4, v8
	v_mul_hi_u32 v13, v7, v10
	v_mul_lo_u32 v10, v7, v10
	v_mul_hi_u32 v15, v7, v8
	v_add_co_u32_e32 v9, vcc, v9, v12
	v_addc_co_u32_e32 v12, vcc, 0, v14, vcc
	v_mul_lo_u32 v8, v7, v8
	v_add_co_u32_e32 v9, vcc, v9, v10
	v_addc_co_u32_e32 v9, vcc, v12, v13, vcc
	v_addc_co_u32_e32 v10, vcc, 0, v15, vcc
	v_add_co_u32_e32 v8, vcc, v9, v8
	v_addc_co_u32_e32 v9, vcc, 0, v10, vcc
	v_add_co_u32_e32 v4, vcc, v4, v8
	v_addc_co_u32_e32 v7, vcc, v7, v9, vcc
	v_mul_lo_u32 v8, s0, v7
	v_mul_hi_u32 v9, s0, v4
	v_mul_lo_u32 v10, s1, v4
	v_mul_lo_u32 v12, s0, v4
	v_add_u32_e32 v8, v9, v8
	v_add_u32_e32 v8, v8, v10
	v_mul_lo_u32 v13, v4, v8
	v_mul_hi_u32 v14, v4, v12
	v_mul_hi_u32 v15, v4, v8
	;; [unrolled: 1-line block ×3, first 2 shown]
	v_mul_lo_u32 v12, v7, v12
	v_mul_hi_u32 v9, v7, v8
	v_add_co_u32_e32 v13, vcc, v14, v13
	v_addc_co_u32_e32 v14, vcc, 0, v15, vcc
	v_mul_lo_u32 v8, v7, v8
	v_add_co_u32_e32 v12, vcc, v13, v12
	v_addc_co_u32_e32 v10, vcc, v14, v10, vcc
	v_addc_co_u32_e32 v9, vcc, 0, v9, vcc
	v_add_co_u32_e32 v8, vcc, v10, v8
	v_addc_co_u32_e32 v9, vcc, 0, v9, vcc
	v_add_co_u32_e32 v4, vcc, v4, v8
	v_addc_co_u32_e32 v9, vcc, v7, v9, vcc
	v_mad_u64_u32 v[7:8], s[0:1], v5, v9, 0
	v_mul_hi_u32 v10, v5, v4
	v_add_co_u32_e32 v12, vcc, v10, v7
	v_addc_co_u32_e32 v13, vcc, 0, v8, vcc
	v_mad_u64_u32 v[7:8], s[0:1], v6, v4, 0
	v_mad_u64_u32 v[9:10], s[0:1], v6, v9, 0
	v_add_co_u32_e32 v4, vcc, v12, v7
	v_addc_co_u32_e32 v4, vcc, v13, v8, vcc
	v_addc_co_u32_e32 v7, vcc, 0, v10, vcc
	v_add_co_u32_e32 v4, vcc, v4, v9
	v_addc_co_u32_e32 v9, vcc, 0, v7, vcc
	v_mul_lo_u32 v10, s19, v4
	v_mul_lo_u32 v12, s18, v9
	v_mad_u64_u32 v[7:8], s[0:1], s18, v4, 0
	v_add3_u32 v8, v8, v12, v10
	v_sub_u32_e32 v10, v6, v8
	v_mov_b32_e32 v12, s19
	v_sub_co_u32_e32 v7, vcc, v5, v7
	v_subb_co_u32_e64 v10, s[0:1], v10, v12, vcc
	v_subrev_co_u32_e64 v12, s[0:1], s18, v7
	v_subbrev_co_u32_e64 v10, s[0:1], 0, v10, s[0:1]
	v_cmp_le_u32_e64 s[0:1], s19, v10
	v_cndmask_b32_e64 v13, 0, -1, s[0:1]
	v_cmp_le_u32_e64 s[0:1], s18, v12
	v_cndmask_b32_e64 v12, 0, -1, s[0:1]
	v_cmp_eq_u32_e64 s[0:1], s19, v10
	v_cndmask_b32_e64 v10, v13, v12, s[0:1]
	v_add_co_u32_e64 v12, s[0:1], 2, v4
	v_addc_co_u32_e64 v13, s[0:1], 0, v9, s[0:1]
	v_add_co_u32_e64 v14, s[0:1], 1, v4
	v_addc_co_u32_e64 v15, s[0:1], 0, v9, s[0:1]
	v_subb_co_u32_e32 v8, vcc, v6, v8, vcc
	v_cmp_ne_u32_e64 s[0:1], 0, v10
	v_cmp_le_u32_e32 vcc, s19, v8
	v_cndmask_b32_e64 v10, v15, v13, s[0:1]
	v_cndmask_b32_e64 v13, 0, -1, vcc
	v_cmp_le_u32_e32 vcc, s18, v7
	v_cndmask_b32_e64 v7, 0, -1, vcc
	v_cmp_eq_u32_e32 vcc, s19, v8
	v_cndmask_b32_e32 v7, v13, v7, vcc
	v_cmp_ne_u32_e32 vcc, 0, v7
	v_cndmask_b32_e64 v7, v14, v12, s[0:1]
	v_cndmask_b32_e32 v8, v9, v10, vcc
	v_cndmask_b32_e32 v7, v4, v7, vcc
.LBB0_4:                                ;   in Loop: Header=BB0_2 Depth=1
	s_andn2_saveexec_b64 s[0:1], s[20:21]
	s_cbranch_execz .LBB0_6
; %bb.5:                                ;   in Loop: Header=BB0_2 Depth=1
	v_cvt_f32_u32_e32 v4, s18
	s_sub_i32 s20, 0, s18
	v_rcp_iflag_f32_e32 v4, v4
	v_mul_f32_e32 v4, 0x4f7ffffe, v4
	v_cvt_u32_f32_e32 v4, v4
	v_mul_lo_u32 v7, s20, v4
	v_mul_hi_u32 v7, v4, v7
	v_add_u32_e32 v4, v4, v7
	v_mul_hi_u32 v4, v5, v4
	v_mul_lo_u32 v7, v4, s18
	v_add_u32_e32 v8, 1, v4
	v_sub_u32_e32 v7, v5, v7
	v_subrev_u32_e32 v9, s18, v7
	v_cmp_le_u32_e32 vcc, s18, v7
	v_cndmask_b32_e32 v7, v7, v9, vcc
	v_cndmask_b32_e32 v4, v4, v8, vcc
	v_add_u32_e32 v8, 1, v4
	v_cmp_le_u32_e32 vcc, s18, v7
	v_cndmask_b32_e32 v7, v4, v8, vcc
	v_mov_b32_e32 v8, v3
.LBB0_6:                                ;   in Loop: Header=BB0_2 Depth=1
	s_or_b64 exec, exec, s[0:1]
	v_mul_lo_u32 v4, v8, s18
	v_mul_lo_u32 v12, v7, s19
	v_mad_u64_u32 v[9:10], s[0:1], v7, s18, 0
	s_load_dwordx2 s[0:1], s[6:7], 0x0
	s_add_u32 s14, s14, 1
	v_add3_u32 v4, v10, v12, v4
	v_sub_co_u32_e32 v5, vcc, v5, v9
	v_subb_co_u32_e32 v4, vcc, v6, v4, vcc
	s_waitcnt lgkmcnt(0)
	v_mul_lo_u32 v4, s0, v4
	v_mul_lo_u32 v6, s1, v5
	v_mad_u64_u32 v[1:2], s[0:1], s0, v5, v[1:2]
	s_addc_u32 s15, s15, 0
	s_add_u32 s6, s6, 8
	v_add3_u32 v2, v6, v2, v4
	v_mov_b32_e32 v4, s10
	v_mov_b32_e32 v5, s11
	s_addc_u32 s7, s7, 0
	v_cmp_ge_u64_e32 vcc, s[14:15], v[4:5]
	s_add_u32 s16, s16, 8
	s_addc_u32 s17, s17, 0
	s_cbranch_vccnz .LBB0_8
; %bb.7:                                ;   in Loop: Header=BB0_2 Depth=1
	v_mov_b32_e32 v5, v7
	v_mov_b32_e32 v6, v8
	s_branch .LBB0_2
.LBB0_8:
	s_lshl_b64 s[0:1], s[10:11], 3
	s_add_u32 s0, s12, s0
	s_addc_u32 s1, s13, s1
	s_load_dwordx2 s[6:7], s[0:1], 0x0
	s_load_dwordx2 s[10:11], s[4:5], 0x20
	v_mov_b32_e32 v6, 0
                                        ; implicit-def: $vgpr10
                                        ; implicit-def: $vgpr13
                                        ; implicit-def: $vgpr21
                                        ; implicit-def: $vgpr19
                                        ; implicit-def: $vgpr29
                                        ; implicit-def: $vgpr15
                                        ; implicit-def: $vgpr17
                                        ; implicit-def: $vgpr23
                                        ; implicit-def: $vgpr25
                                        ; implicit-def: $vgpr27
                                        ; implicit-def: $vgpr31
	s_waitcnt lgkmcnt(0)
	v_mad_u64_u32 v[1:2], s[0:1], s6, v7, v[1:2]
	s_mov_b32 s0, 0x13b13b14
	v_mul_lo_u32 v3, s6, v8
	v_mul_lo_u32 v4, s7, v7
	v_mul_hi_u32 v5, v0, s0
	v_cmp_gt_u64_e32 vcc, s[10:11], v[7:8]
                                        ; implicit-def: $vgpr8
	v_add3_u32 v2, v4, v2, v3
	v_mul_u32_u24_e32 v3, 13, v5
	v_sub_u32_e32 v4, v0, v3
	v_mov_b32_e32 v3, 0
	v_mov_b32_e32 v5, 0
	s_and_saveexec_b64 s[4:5], vcc
	s_cbranch_execz .LBB0_12
; %bb.9:
	v_cmp_gt_u32_e64 s[0:1], 11, v4
	v_mov_b32_e32 v5, 0
	v_mov_b32_e32 v6, 0
                                        ; implicit-def: $vgpr30
                                        ; implicit-def: $vgpr26
                                        ; implicit-def: $vgpr24
                                        ; implicit-def: $vgpr22
                                        ; implicit-def: $vgpr16
                                        ; implicit-def: $vgpr14
                                        ; implicit-def: $vgpr28
                                        ; implicit-def: $vgpr18
                                        ; implicit-def: $vgpr20
                                        ; implicit-def: $vgpr12
                                        ; implicit-def: $vgpr9
                                        ; implicit-def: $vgpr7
	s_and_saveexec_b64 s[6:7], s[0:1]
	s_cbranch_execz .LBB0_11
; %bb.10:
	v_lshlrev_b64 v[6:7], 3, v[1:2]
	v_mov_b32_e32 v5, 0
	v_mov_b32_e32 v0, s3
	v_add_co_u32_e64 v3, s[0:1], s2, v6
	v_lshlrev_b64 v[5:6], 3, v[4:5]
	v_addc_co_u32_e64 v0, s[0:1], v0, v7, s[0:1]
	v_add_co_u32_e64 v32, s[0:1], v3, v5
	v_addc_co_u32_e64 v33, s[0:1], v0, v6, s[0:1]
	global_load_dwordx2 v[5:6], v[32:33], off
	global_load_dwordx2 v[7:8], v[32:33], off offset:88
	global_load_dwordx2 v[9:10], v[32:33], off offset:176
	global_load_dwordx2 v[12:13], v[32:33], off offset:264
	global_load_dwordx2 v[20:21], v[32:33], off offset:352
	global_load_dwordx2 v[18:19], v[32:33], off offset:440
	global_load_dwordx2 v[28:29], v[32:33], off offset:528
	global_load_dwordx2 v[30:31], v[32:33], off offset:616
	global_load_dwordx2 v[26:27], v[32:33], off offset:704
	global_load_dwordx2 v[24:25], v[32:33], off offset:792
	global_load_dwordx2 v[22:23], v[32:33], off offset:880
	global_load_dwordx2 v[16:17], v[32:33], off offset:968
	global_load_dwordx2 v[14:15], v[32:33], off offset:1056
.LBB0_11:
	s_or_b64 exec, exec, s[6:7]
	v_mov_b32_e32 v3, v4
.LBB0_12:
	s_or_b64 exec, exec, s[4:5]
	v_lshrrev_b32_e32 v0, 1, v11
	s_mov_b32 s0, 0x92492493
	v_mul_hi_u32 v0, v0, s0
	v_cmp_gt_u32_e64 s[0:1], 11, v4
	v_lshrrev_b32_e32 v0, 2, v0
	v_mul_lo_u32 v0, v0, 14
	v_sub_u32_e32 v0, v11, v0
	v_mul_u32_u24_e32 v0, 0x8f, v0
	v_lshlrev_b32_e32 v0, 3, v0
	s_and_saveexec_b64 s[4:5], s[0:1]
	s_cbranch_execz .LBB0_14
; %bb.13:
	s_waitcnt vmcnt(11)
	v_add_f32_e32 v32, v6, v8
	s_waitcnt vmcnt(10)
	v_add_f32_e32 v32, v32, v10
	;; [unrolled: 2-line block ×6, first 2 shown]
	v_add_f32_e32 v32, v5, v7
	v_add_f32_e32 v32, v32, v9
	;; [unrolled: 1-line block ×5, first 2 shown]
	s_waitcnt vmcnt(5)
	v_sub_f32_e32 v11, v28, v30
	v_add_f32_e32 v34, v32, v28
	v_add_f32_e32 v32, v29, v31
	;; [unrolled: 1-line block ×3, first 2 shown]
	v_sub_f32_e32 v28, v29, v31
	v_add_f32_e32 v29, v33, v31
	v_add_f32_e32 v30, v34, v30
	s_waitcnt vmcnt(4)
	v_sub_f32_e32 v31, v18, v26
	v_add_f32_e32 v37, v19, v27
	v_add_f32_e32 v33, v18, v26
	v_sub_f32_e32 v18, v19, v27
	v_add_f32_e32 v19, v27, v29
	v_add_f32_e32 v26, v26, v30
	s_waitcnt vmcnt(3)
	v_add_f32_e32 v19, v25, v19
	v_sub_f32_e32 v27, v20, v24
	v_add_f32_e32 v38, v21, v25
	v_add_f32_e32 v29, v20, v24
	v_sub_f32_e32 v39, v21, v25
	v_add_f32_e32 v20, v24, v26
	s_waitcnt vmcnt(2)
	v_sub_f32_e32 v21, v12, v22
	v_add_f32_e32 v24, v12, v22
	v_add_f32_e32 v12, v23, v19
	s_waitcnt vmcnt(0)
	v_sub_f32_e32 v25, v7, v14
	v_add_f32_e32 v40, v13, v23
	v_sub_f32_e32 v41, v13, v23
	v_add_f32_e32 v13, v22, v20
	;; [unrolled: 2-line block ×3, first 2 shown]
	v_add_f32_e32 v9, v17, v12
	v_mul_f32_e32 v30, 0xbe750f2a, v25
	v_add_f32_e32 v42, v10, v17
	v_sub_f32_e32 v43, v10, v17
	v_add_f32_e32 v10, v16, v13
	v_add_f32_e32 v44, v8, v15
	v_sub_f32_e32 v45, v8, v15
	v_add_f32_e32 v8, v15, v9
	v_mov_b32_e32 v9, v30
	v_mul_f32_e32 v34, 0x3eedf032, v22
	v_add_f32_e32 v26, v7, v14
	v_add_f32_e32 v7, v14, v10
	v_fmac_f32_e32 v9, 0xbf788fa5, v44
	v_mov_b32_e32 v10, v34
	v_add_f32_e32 v9, v6, v9
	v_fmac_f32_e32 v10, 0x3f62ad3f, v42
	v_mul_f32_e32 v36, 0xbf29c268, v21
	v_add_f32_e32 v9, v9, v10
	v_mov_b32_e32 v10, v36
	v_fmac_f32_e32 v10, 0xbf3f9e67, v40
	v_mul_f32_e32 v46, 0x3f52af12, v27
	v_add_f32_e32 v9, v9, v10
	v_mov_b32_e32 v10, v46
	v_fmac_f32_e32 v10, 0x3f116cb1, v38
	v_mul_f32_e32 v47, 0xbf6f5d39, v31
	v_add_f32_e32 v9, v9, v10
	v_mov_b32_e32 v10, v47
	v_fmac_f32_e32 v10, 0xbeb58ec6, v37
	v_mul_f32_e32 v48, 0xbf788fa5, v26
	v_add_f32_e32 v9, v9, v10
	v_mov_b32_e32 v10, v48
	v_mul_f32_e32 v49, 0x3f62ad3f, v23
	v_fmac_f32_e32 v10, 0x3e750f2a, v45
	v_mov_b32_e32 v12, v49
	v_add_f32_e32 v10, v5, v10
	v_fmac_f32_e32 v12, 0xbeedf032, v43
	v_mul_f32_e32 v50, 0xbf3f9e67, v24
	v_add_f32_e32 v10, v10, v12
	v_mov_b32_e32 v12, v50
	v_fmac_f32_e32 v12, 0x3f29c268, v41
	v_mul_f32_e32 v51, 0x3f116cb1, v29
	v_add_f32_e32 v10, v10, v12
	v_mov_b32_e32 v12, v51
	v_fmac_f32_e32 v12, 0xbf52af12, v39
	v_mul_f32_e32 v52, 0xbeb58ec6, v33
	v_add_f32_e32 v10, v10, v12
	v_mov_b32_e32 v12, v52
	v_fmac_f32_e32 v12, 0x3f6f5d39, v18
	v_mul_f32_e32 v53, 0x3f7e222b, v11
	v_add_f32_e32 v12, v10, v12
	v_mov_b32_e32 v10, v53
	v_fmac_f32_e32 v10, 0x3df6dbef, v32
	v_mul_f32_e32 v54, 0x3df6dbef, v35
	v_add_f32_e32 v10, v9, v10
	v_mov_b32_e32 v9, v54
	v_fmac_f32_e32 v9, 0xbf7e222b, v28
	v_mul_f32_e32 v55, 0xbf29c268, v25
	v_add_f32_e32 v9, v12, v9
	v_mov_b32_e32 v12, v55
	v_mul_f32_e32 v56, 0x3f7e222b, v22
	v_fmac_f32_e32 v12, 0xbf3f9e67, v44
	v_mov_b32_e32 v13, v56
	v_add_f32_e32 v12, v6, v12
	v_fmac_f32_e32 v13, 0x3df6dbef, v42
	v_mul_f32_e32 v57, 0xbf52af12, v21
	v_add_f32_e32 v12, v12, v13
	v_mov_b32_e32 v13, v57
	v_fmac_f32_e32 v13, 0x3f116cb1, v40
	v_mul_f32_e32 v58, 0x3e750f2a, v27
	v_add_f32_e32 v12, v12, v13
	v_mov_b32_e32 v13, v58
	v_fmac_f32_e32 v13, 0xbf788fa5, v38
	v_mul_f32_e32 v59, 0x3eedf032, v31
	v_add_f32_e32 v12, v12, v13
	v_mov_b32_e32 v13, v59
	v_fmac_f32_e32 v13, 0x3f62ad3f, v37
	v_mul_f32_e32 v60, 0xbf3f9e67, v26
	v_add_f32_e32 v12, v12, v13
	v_mov_b32_e32 v13, v60
	v_mul_f32_e32 v61, 0x3df6dbef, v23
	v_fmac_f32_e32 v13, 0x3f29c268, v45
	v_mov_b32_e32 v14, v61
	v_add_f32_e32 v13, v5, v13
	v_fmac_f32_e32 v14, 0xbf7e222b, v43
	v_mul_f32_e32 v62, 0x3f116cb1, v24
	v_add_f32_e32 v13, v13, v14
	v_mov_b32_e32 v14, v62
	v_fmac_f32_e32 v14, 0x3f52af12, v41
	v_mul_f32_e32 v63, 0xbf788fa5, v29
	v_add_f32_e32 v13, v13, v14
	v_mov_b32_e32 v14, v63
	v_fmac_f32_e32 v14, 0xbe750f2a, v39
	v_mul_f32_e32 v64, 0x3f62ad3f, v33
	v_add_f32_e32 v13, v13, v14
	v_mov_b32_e32 v14, v64
	v_fmac_f32_e32 v14, 0xbeedf032, v18
	v_mul_f32_e32 v65, 0xbf6f5d39, v11
	v_add_f32_e32 v14, v13, v14
	v_mov_b32_e32 v13, v65
	v_fmac_f32_e32 v13, 0xbeb58ec6, v32
	v_mul_f32_e32 v66, 0xbeb58ec6, v35
	v_add_f32_e32 v13, v12, v13
	v_mov_b32_e32 v12, v66
	v_fmac_f32_e32 v12, 0x3f6f5d39, v28
	v_mul_f32_e32 v67, 0xbf6f5d39, v25
	v_add_f32_e32 v12, v14, v12
	v_mov_b32_e32 v14, v67
	v_mul_f32_e32 v68, 0x3f29c268, v22
	;; [unrolled: 48-line block ×4, first 2 shown]
	v_fmac_f32_e32 v19, 0x3f116cb1, v44
	v_mov_b32_e32 v20, v92
	v_add_f32_e32 v19, v6, v19
	v_fmac_f32_e32 v20, 0xbeb58ec6, v42
	v_mul_f32_e32 v93, 0xbe750f2a, v21
	v_add_f32_e32 v19, v19, v20
	v_mov_b32_e32 v20, v93
	v_fmac_f32_e32 v20, 0xbf788fa5, v40
	v_mul_f32_e32 v94, 0x3f29c268, v27
	v_add_f32_e32 v19, v19, v20
	v_mov_b32_e32 v20, v94
	;; [unrolled: 4-line block ×4, first 2 shown]
	v_mul_f32_e32 v97, 0xbeb58ec6, v23
	v_fmac_f32_e32 v20, 0x3f52af12, v45
	v_mov_b32_e32 v98, v97
	v_add_f32_e32 v20, v5, v20
	v_fmac_f32_e32 v98, 0x3f6f5d39, v43
	v_add_f32_e32 v20, v20, v98
	v_mul_f32_e32 v98, 0xbf788fa5, v24
	v_mov_b32_e32 v99, v98
	v_fmac_f32_e32 v99, 0x3e750f2a, v41
	v_add_f32_e32 v20, v20, v99
	v_mul_f32_e32 v99, 0xbf3f9e67, v29
	v_mov_b32_e32 v100, v99
	;; [unrolled: 4-line block ×3, first 2 shown]
	v_fmac_f32_e32 v101, 0xbf7e222b, v18
	v_mul_f32_e32 v102, 0x3eedf032, v11
	v_add_f32_e32 v101, v20, v101
	v_mov_b32_e32 v20, v102
	v_fmac_f32_e32 v20, 0x3f62ad3f, v32
	v_mul_f32_e32 v103, 0x3f62ad3f, v35
	v_add_f32_e32 v20, v19, v20
	v_mov_b32_e32 v19, v103
	v_fmac_f32_e32 v19, 0xbeedf032, v28
	v_add_f32_e32 v19, v101, v19
	v_mul_f32_e32 v101, 0xbeedf032, v25
	v_mov_b32_e32 v25, v101
	v_mul_f32_e32 v104, 0xbf52af12, v22
	v_fmac_f32_e32 v25, 0x3f62ad3f, v44
	v_mov_b32_e32 v22, v104
	v_mul_f32_e32 v105, 0xbf7e222b, v21
	v_add_f32_e32 v25, v6, v25
	v_fmac_f32_e32 v22, 0x3f116cb1, v42
	v_mov_b32_e32 v21, v105
	v_add_f32_e32 v22, v25, v22
	v_fmac_f32_e32 v21, 0x3df6dbef, v40
	v_mul_f32_e32 v27, 0xbf6f5d39, v27
	v_add_f32_e32 v21, v22, v21
	v_mov_b32_e32 v22, v27
	v_fmac_f32_e32 v22, 0xbeb58ec6, v38
	v_mul_f32_e32 v31, 0xbf29c268, v31
	v_add_f32_e32 v21, v21, v22
	v_mov_b32_e32 v22, v31
	;; [unrolled: 4-line block ×3, first 2 shown]
	v_mul_f32_e32 v107, 0x3f116cb1, v23
	v_fmac_f32_e32 v22, 0x3eedf032, v45
	v_mov_b32_e32 v23, v107
	v_add_f32_e32 v22, v5, v22
	v_fmac_f32_e32 v23, 0x3f52af12, v43
	v_mul_f32_e32 v108, 0x3df6dbef, v24
	v_add_f32_e32 v22, v22, v23
	v_mov_b32_e32 v23, v108
	v_fmac_f32_e32 v23, 0x3f7e222b, v41
	v_mul_f32_e32 v109, 0xbeb58ec6, v29
	v_add_f32_e32 v22, v22, v23
	v_mov_b32_e32 v23, v109
	;; [unrolled: 4-line block ×5, first 2 shown]
	v_fmac_f32_e32 v21, 0x3e750f2a, v28
	s_mov_b32 s0, 0xbf788fa5
	v_add_f32_e32 v21, v23, v21
	s_mov_b32 s1, 0x3f62ad3f
	v_fma_f32 v23, v44, s0, -v30
	v_add_f32_e32 v23, v6, v23
	v_fma_f32 v24, v42, s1, -v34
	s_mov_b32 s6, 0xbf3f9e67
	v_add_f32_e32 v23, v23, v24
	v_fma_f32 v24, v40, s6, -v36
	s_mov_b32 s7, 0x3f116cb1
	v_add_f32_e32 v23, v23, v24
	v_fma_f32 v24, v38, s7, -v46
	s_mov_b32 s10, 0xbeb58ec6
	v_add_f32_e32 v23, v23, v24
	v_fma_f32 v24, v37, s10, -v47
	v_fmac_f32_e32 v48, 0xbe750f2a, v45
	v_add_f32_e32 v23, v23, v24
	v_add_f32_e32 v24, v5, v48
	v_fmac_f32_e32 v49, 0x3eedf032, v43
	v_add_f32_e32 v24, v24, v49
	v_fmac_f32_e32 v50, 0xbf29c268, v41
	;; [unrolled: 2-line block ×4, first 2 shown]
	s_mov_b32 s11, 0x3df6dbef
	v_add_f32_e32 v25, v24, v52
	v_fma_f32 v24, v32, s11, -v53
	v_fmac_f32_e32 v54, 0x3f7e222b, v28
	v_add_f32_e32 v24, v23, v24
	v_add_f32_e32 v23, v25, v54
	v_fma_f32 v25, v44, s6, -v55
	v_add_f32_e32 v25, v6, v25
	v_fma_f32 v26, v42, s11, -v56
	v_add_f32_e32 v25, v25, v26
	v_fma_f32 v26, v40, s7, -v57
	v_add_f32_e32 v25, v25, v26
	v_fma_f32 v26, v38, s0, -v58
	v_add_f32_e32 v25, v25, v26
	v_fma_f32 v26, v37, s1, -v59
	v_fmac_f32_e32 v60, 0xbf29c268, v45
	v_add_f32_e32 v25, v25, v26
	v_add_f32_e32 v26, v5, v60
	v_fmac_f32_e32 v61, 0x3f7e222b, v43
	v_add_f32_e32 v26, v26, v61
	v_fmac_f32_e32 v62, 0xbf52af12, v41
	v_add_f32_e32 v26, v26, v62
	v_fmac_f32_e32 v63, 0x3e750f2a, v39
	v_add_f32_e32 v26, v26, v63
	v_fmac_f32_e32 v64, 0x3eedf032, v18
	v_add_f32_e32 v29, v26, v64
	v_fma_f32 v26, v32, s10, -v65
	v_fmac_f32_e32 v66, 0xbf6f5d39, v28
	v_add_f32_e32 v26, v25, v26
	v_add_f32_e32 v25, v29, v66
	v_fma_f32 v29, v44, s10, -v67
	v_add_f32_e32 v29, v6, v29
	v_fma_f32 v30, v42, s6, -v68
	v_add_f32_e32 v29, v29, v30
	v_fma_f32 v30, v40, s1, -v69
	v_add_f32_e32 v29, v29, v30
	v_fma_f32 v30, v38, s11, -v70
	v_add_f32_e32 v29, v29, v30
	v_fma_f32 v30, v37, s0, -v71
	v_fmac_f32_e32 v72, 0xbf6f5d39, v45
	v_add_f32_e32 v29, v29, v30
	v_add_f32_e32 v30, v5, v72
	v_fmac_f32_e32 v73, 0x3f29c268, v43
	v_add_f32_e32 v30, v30, v73
	v_fmac_f32_e32 v74, 0x3eedf032, v41
	v_add_f32_e32 v30, v30, v74
	v_fmac_f32_e32 v75, 0xbf7e222b, v39
	v_add_f32_e32 v30, v30, v75
	v_fmac_f32_e32 v76, 0x3e750f2a, v18
	;; [unrolled: 24-line block ×3, first 2 shown]
	v_add_f32_e32 v35, v34, v88
	v_fma_f32 v34, v32, s6, -v89
	v_fmac_f32_e32 v90, 0xbf29c268, v28
	v_add_f32_e32 v34, v33, v34
	v_add_f32_e32 v33, v35, v90
	v_fma_f32 v35, v44, s7, -v91
	v_add_f32_e32 v35, v6, v35
	v_fma_f32 v36, v42, s10, -v92
	v_add_f32_e32 v35, v35, v36
	v_fma_f32 v36, v40, s0, -v93
	v_fma_f32 v44, v44, s1, -v101
	v_add_f32_e32 v35, v35, v36
	v_fma_f32 v36, v38, s6, -v94
	v_add_f32_e32 v6, v6, v44
	;; [unrolled: 2-line block ×3, first 2 shown]
	v_fma_f32 v36, v37, s11, -v95
	v_fmac_f32_e32 v96, 0xbf52af12, v45
	v_fmac_f32_e32 v106, 0xbeedf032, v45
	v_add_f32_e32 v6, v6, v42
	v_fma_f32 v40, v40, s11, -v105
	v_add_f32_e32 v35, v35, v36
	v_add_f32_e32 v36, v5, v96
	v_fmac_f32_e32 v97, 0xbf6f5d39, v43
	v_add_f32_e32 v5, v5, v106
	v_add_f32_e32 v6, v6, v40
	v_fma_f32 v27, v38, s10, -v27
	v_fmac_f32_e32 v107, 0xbf52af12, v43
	v_add_f32_e32 v36, v36, v97
	v_fmac_f32_e32 v98, 0xbe750f2a, v41
	v_add_f32_e32 v6, v6, v27
	v_fma_f32 v27, v37, s6, -v31
	v_add_f32_e32 v5, v5, v107
	v_fmac_f32_e32 v108, 0xbf7e222b, v41
	v_add_f32_e32 v36, v36, v98
	v_fmac_f32_e32 v99, 0x3f29c268, v39
	v_add_f32_e32 v6, v6, v27
	v_fma_f32 v11, v32, s0, -v11
	v_add_f32_e32 v5, v5, v108
	v_fmac_f32_e32 v109, 0xbf6f5d39, v39
	v_add_f32_e32 v36, v36, v99
	v_fmac_f32_e32 v100, 0x3f7e222b, v18
	;; [unrolled: 2-line block ×3, first 2 shown]
	v_add_f32_e32 v6, v6, v11
	v_mul_u32_u24_e32 v11, 0x68, v4
	v_add_f32_e32 v46, v36, v100
	v_fma_f32 v36, v32, s1, -v102
	v_fmac_f32_e32 v103, 0x3eedf032, v28
	v_add_f32_e32 v5, v5, v110
	v_fmac_f32_e32 v111, 0xbe750f2a, v28
	v_add3_u32 v11, 0, v11, v0
	v_add_f32_e32 v36, v35, v36
	v_add_f32_e32 v35, v46, v103
	;; [unrolled: 1-line block ×3, first 2 shown]
	ds_write2_b64 v11, v[7:8], v[21:22] offset1:1
	ds_write2_b64 v11, v[19:20], v[16:17] offset0:2 offset1:3
	ds_write2_b64 v11, v[14:15], v[12:13] offset0:4 offset1:5
	;; [unrolled: 1-line block ×5, first 2 shown]
	ds_write_b64 v11, v[5:6] offset:96
.LBB0_14:
	s_or_b64 exec, exec, s[4:5]
	s_waitcnt vmcnt(0) lgkmcnt(0)
	s_barrier
	s_and_saveexec_b64 s[0:1], vcc
	s_cbranch_execz .LBB0_16
; %bb.15:
	v_mul_u32_u24_e32 v5, 10, v4
	v_lshlrev_b32_e32 v25, 3, v5
	global_load_dwordx4 v[5:8], v25, s[8:9] offset:64
	global_load_dwordx4 v[9:12], v25, s[8:9]
	global_load_dwordx4 v[13:16], v25, s[8:9] offset:48
	global_load_dwordx4 v[17:20], v25, s[8:9] offset:16
	;; [unrolled: 1-line block ×3, first 2 shown]
	v_lshlrev_b32_e32 v4, 3, v4
	v_add3_u32 v41, 0, v4, v0
	v_add3_u32 v0, 0, v0, v4
	ds_read2_b64 v[25:28], v41 offset0:117 offset1:130
	ds_read2_b64 v[29:32], v41 offset0:13 offset1:26
	ds_read_b64 v[45:46], v0
	ds_read2_b64 v[33:36], v41 offset0:91 offset1:104
	ds_read2_b64 v[37:40], v41 offset0:39 offset1:52
	;; [unrolled: 1-line block ×3, first 2 shown]
	s_mov_b32 s0, 0xbf75a155
	s_mov_b32 s1, 0x3f575c64
	s_mov_b32 s4, 0xbf27a4f4
	s_mov_b32 s5, 0x3ed4b147
	s_mov_b32 s6, 0xbe11bafb
	s_waitcnt vmcnt(4) lgkmcnt(5)
	v_mul_f32_e32 v0, v7, v28
	s_waitcnt vmcnt(3) lgkmcnt(4)
	v_mul_f32_e32 v4, v9, v30
	v_mul_f32_e32 v30, v10, v30
	;; [unrolled: 1-line block ×4, first 2 shown]
	v_fmac_f32_e32 v0, v8, v27
	v_fmac_f32_e32 v4, v10, v29
	v_mul_f32_e32 v28, v8, v28
	v_mul_f32_e32 v32, v12, v32
	s_waitcnt vmcnt(2) lgkmcnt(2)
	v_mul_f32_e32 v49, v15, v36
	s_waitcnt vmcnt(1) lgkmcnt(1)
	v_mul_f32_e32 v50, v17, v38
	v_fma_f32 v29, v9, v29, -v30
	v_fmac_f32_e32 v47, v6, v25
	v_fmac_f32_e32 v48, v12, v31
	v_add_f32_e32 v30, v0, v4
	v_mul_f32_e32 v26, v6, v26
	v_mul_f32_e32 v36, v16, v36
	;; [unrolled: 1-line block ×4, first 2 shown]
	v_fma_f32 v27, v27, v7, -v28
	v_fma_f32 v28, v11, v31, -v32
	v_fmac_f32_e32 v49, v16, v35
	v_fmac_f32_e32 v50, v18, v37
	v_add_f32_e32 v31, v47, v48
	v_mul_f32_e32 v7, 0xbf75a155, v30
	v_mul_f32_e32 v38, v18, v38
	;; [unrolled: 1-line block ×3, first 2 shown]
	s_waitcnt vmcnt(0) lgkmcnt(0)
	v_mul_f32_e32 v53, v23, v44
	v_mul_f32_e32 v54, v21, v42
	v_fma_f32 v25, v25, v5, -v26
	v_fma_f32 v26, v35, v15, -v36
	v_fmac_f32_e32 v51, v14, v33
	v_fmac_f32_e32 v52, v20, v39
	v_sub_f32_e32 v15, v29, v27
	v_add_f32_e32 v32, v49, v50
	v_mul_f32_e32 v8, 0x3f575c64, v31
	v_mov_b32_e32 v5, v7
	v_mul_f32_e32 v40, v20, v40
	v_fma_f32 v17, v17, v37, -v38
	v_fma_f32 v20, v33, v13, -v34
	v_fmac_f32_e32 v53, v24, v43
	v_fmac_f32_e32 v54, v22, v41
	v_sub_f32_e32 v16, v28, v25
	v_add_f32_e32 v33, v51, v52
	v_mul_f32_e32 v9, 0xbf27a4f4, v32
	v_mov_b32_e32 v6, v8
	v_fmac_f32_e32 v5, 0x3e903f40, v15
	v_mul_f32_e32 v42, v22, v42
	v_mul_f32_e32 v44, v24, v44
	v_fma_f32 v19, v19, v39, -v40
	v_sub_f32_e32 v18, v17, v26
	v_add_f32_e32 v34, v53, v54
	v_mul_f32_e32 v10, 0x3ed4b147, v33
	v_mov_b32_e32 v12, v9
	v_fmac_f32_e32 v6, 0xbf0a6770, v16
	v_add_f32_e32 v5, v5, v46
	v_fma_f32 v21, v21, v41, -v42
	v_fma_f32 v22, v43, v23, -v44
	v_sub_f32_e32 v23, v19, v20
	v_mul_f32_e32 v11, 0xbe11bafb, v34
	v_mov_b32_e32 v13, v10
	v_fmac_f32_e32 v12, 0x3f4178ce, v18
	v_add_f32_e32 v5, v5, v6
	v_sub_f32_e32 v24, v21, v22
	v_sub_f32_e32 v36, v4, v0
	v_mov_b32_e32 v14, v11
	v_fmac_f32_e32 v13, 0xbf68dda4, v23
	v_add_f32_e32 v5, v5, v12
	v_fmac_f32_e32 v14, 0x3f7d64f0, v24
	v_add_f32_e32 v5, v5, v13
	v_mul_f32_e32 v12, 0xbe903f40, v36
	v_sub_f32_e32 v38, v48, v47
	v_add_f32_e32 v35, v27, v29
	v_add_f32_e32 v6, v5, v14
	v_mov_b32_e32 v5, v12
	v_mul_f32_e32 v13, 0x3f0a6770, v38
	v_fmac_f32_e32 v7, 0xbe903f40, v15
	v_fmac_f32_e32 v5, 0xbf75a155, v35
	v_add_f32_e32 v37, v25, v28
	v_mov_b32_e32 v14, v13
	v_add_f32_e32 v7, v7, v46
	v_fmac_f32_e32 v8, 0x3f0a6770, v16
	v_add_f32_e32 v5, v5, v45
	v_fmac_f32_e32 v14, 0x3f575c64, v37
	v_sub_f32_e32 v40, v50, v49
	v_add_f32_e32 v7, v7, v8
	v_fmac_f32_e32 v9, 0xbf4178ce, v18
	v_add_f32_e32 v5, v5, v14
	v_mul_f32_e32 v14, 0xbf4178ce, v40
	v_add_f32_e32 v7, v7, v9
	v_fmac_f32_e32 v10, 0x3f68dda4, v23
	v_add_f32_e32 v39, v26, v17
	v_mov_b32_e32 v41, v14
	v_sub_f32_e32 v42, v52, v51
	v_add_f32_e32 v7, v7, v10
	v_fmac_f32_e32 v11, 0xbf7d64f0, v24
	v_fmac_f32_e32 v41, 0xbf27a4f4, v39
	v_mul_f32_e32 v43, 0x3f68dda4, v42
	v_add_f32_e32 v8, v7, v11
	v_fma_f32 v7, v35, s0, -v12
	v_add_f32_e32 v5, v5, v41
	v_add_f32_e32 v41, v20, v19
	v_mov_b32_e32 v44, v43
	v_add_f32_e32 v7, v7, v45
	v_fma_f32 v9, v37, s1, -v13
	v_fmac_f32_e32 v44, 0x3ed4b147, v41
	v_sub_f32_e32 v55, v54, v53
	v_add_f32_e32 v7, v7, v9
	v_fma_f32 v9, v39, s4, -v14
	v_add_f32_e32 v5, v5, v44
	v_add_f32_e32 v44, v22, v21
	v_mul_f32_e32 v56, 0xbf7d64f0, v55
	v_add_f32_e32 v7, v7, v9
	v_fma_f32 v9, v41, s5, -v43
	v_add_f32_e32 v7, v7, v9
	v_fma_f32 v9, v44, s6, -v56
	v_mul_f32_e32 v43, 0xbf4178ce, v15
	v_mov_b32_e32 v57, v56
	v_add_f32_e32 v7, v7, v9
	v_mov_b32_e32 v9, v43
	v_mul_f32_e32 v56, 0x3f7d64f0, v16
	v_fmac_f32_e32 v57, 0xbe11bafb, v44
	v_fmac_f32_e32 v9, 0xbf27a4f4, v30
	v_mov_b32_e32 v10, v56
	v_add_f32_e32 v5, v5, v57
	v_add_f32_e32 v9, v9, v46
	v_fmac_f32_e32 v10, 0xbe11bafb, v31
	v_mul_f32_e32 v57, 0xbf0a6770, v18
	v_add_f32_e32 v9, v9, v10
	v_mov_b32_e32 v10, v57
	v_fmac_f32_e32 v10, 0x3f575c64, v32
	v_mul_f32_e32 v58, 0xbe903f40, v23
	v_add_f32_e32 v9, v9, v10
	v_mov_b32_e32 v10, v58
	;; [unrolled: 4-line block ×3, first 2 shown]
	v_fmac_f32_e32 v10, 0x3ed4b147, v34
	v_mul_f32_e32 v60, 0xbf4178ce, v36
	v_add_f32_e32 v10, v9, v10
	v_fma_f32 v9, v35, s4, -v60
	v_mul_f32_e32 v61, 0x3f7d64f0, v38
	v_add_f32_e32 v9, v9, v45
	v_fma_f32 v11, v37, s6, -v61
	v_mul_f32_e32 v62, 0xbf0a6770, v40
	v_add_f32_e32 v9, v9, v11
	v_fma_f32 v11, v39, s1, -v62
	v_mul_f32_e32 v63, 0xbe903f40, v42
	v_add_f32_e32 v9, v9, v11
	v_fma_f32 v11, v41, s0, -v63
	v_mul_f32_e32 v64, 0x3f68dda4, v55
	v_add_f32_e32 v9, v9, v11
	v_fma_f32 v11, v44, s5, -v64
	v_mul_f32_e32 v65, 0xbf7d64f0, v15
	v_add_f32_e32 v9, v9, v11
	v_mov_b32_e32 v11, v65
	v_mul_f32_e32 v66, 0x3e903f40, v16
	v_fmac_f32_e32 v11, 0xbe11bafb, v30
	v_mov_b32_e32 v12, v66
	v_add_f32_e32 v11, v11, v46
	v_fmac_f32_e32 v12, 0xbf75a155, v31
	v_mul_f32_e32 v67, 0x3f68dda4, v18
	v_add_f32_e32 v11, v11, v12
	v_mov_b32_e32 v12, v67
	v_fmac_f32_e32 v12, 0x3ed4b147, v32
	v_mul_f32_e32 v68, 0xbf0a6770, v23
	v_add_f32_e32 v11, v11, v12
	v_mov_b32_e32 v12, v68
	;; [unrolled: 4-line block ×3, first 2 shown]
	v_fmac_f32_e32 v12, 0xbf27a4f4, v34
	v_mul_f32_e32 v70, 0xbf7d64f0, v36
	v_add_f32_e32 v12, v11, v12
	v_fma_f32 v11, v35, s6, -v70
	v_mul_f32_e32 v71, 0x3e903f40, v38
	v_add_f32_e32 v11, v11, v45
	v_fma_f32 v13, v37, s0, -v71
	;; [unrolled: 3-line block ×5, first 2 shown]
	v_mul_f32_e32 v75, 0xbf68dda4, v15
	v_add_f32_e32 v11, v11, v13
	v_mov_b32_e32 v13, v75
	v_mul_f32_e32 v76, 0xbf4178ce, v16
	v_fmac_f32_e32 v13, 0x3ed4b147, v30
	v_mov_b32_e32 v14, v76
	v_add_f32_e32 v13, v13, v46
	v_fmac_f32_e32 v14, 0xbf27a4f4, v31
	v_mul_f32_e32 v77, 0x3e903f40, v18
	v_add_f32_e32 v13, v13, v14
	v_mov_b32_e32 v14, v77
	v_fmac_f32_e32 v14, 0xbf75a155, v32
	v_mul_f32_e32 v78, 0x3f7d64f0, v23
	v_add_f32_e32 v13, v13, v14
	v_mov_b32_e32 v14, v78
	;; [unrolled: 4-line block ×3, first 2 shown]
	v_fmac_f32_e32 v14, 0x3f575c64, v34
	v_mul_f32_e32 v80, 0xbf68dda4, v36
	v_add_f32_e32 v14, v13, v14
	v_fma_f32 v13, v35, s5, -v80
	v_mul_f32_e32 v81, 0xbf4178ce, v38
	v_add_f32_e32 v13, v13, v45
	v_fma_f32 v82, v37, s4, -v81
	v_add_f32_e32 v13, v13, v82
	v_mul_f32_e32 v82, 0x3e903f40, v40
	v_fma_f32 v83, v39, s0, -v82
	v_add_f32_e32 v13, v13, v83
	v_mul_f32_e32 v83, 0x3f7d64f0, v42
	;; [unrolled: 3-line block ×4, first 2 shown]
	v_mov_b32_e32 v15, v85
	v_mul_f32_e32 v86, 0xbf68dda4, v16
	v_fmac_f32_e32 v15, 0x3f575c64, v30
	v_mov_b32_e32 v16, v86
	v_add_f32_e32 v15, v15, v46
	v_fmac_f32_e32 v16, 0x3ed4b147, v31
	v_mul_f32_e32 v87, 0xbf7d64f0, v18
	v_add_f32_e32 v15, v15, v16
	v_mov_b32_e32 v16, v87
	v_fmac_f32_e32 v16, 0xbe11bafb, v32
	v_mul_f32_e32 v88, 0xbf4178ce, v23
	v_add_f32_e32 v15, v15, v16
	v_mov_b32_e32 v16, v88
	v_add_f32_e32 v4, v4, v46
	v_fmac_f32_e32 v16, 0xbf27a4f4, v33
	v_mul_f32_e32 v89, 0xbe903f40, v24
	v_add_f32_e32 v4, v4, v48
	v_add_f32_e32 v15, v15, v16
	v_mov_b32_e32 v16, v89
	v_add_f32_e32 v4, v4, v50
	v_fmac_f32_e32 v16, 0xbf75a155, v34
	v_mul_f32_e32 v36, 0xbf0a6770, v36
	v_add_f32_e32 v4, v4, v52
	v_add_f32_e32 v16, v15, v16
	v_fma_f32 v15, v35, s1, -v36
	v_mul_f32_e32 v38, 0xbf68dda4, v38
	v_add_f32_e32 v4, v4, v54
	v_add_f32_e32 v15, v15, v45
	v_fma_f32 v18, v37, s5, -v38
	;; [unrolled: 4-line block ×5, first 2 shown]
	v_add_f32_e32 v4, v47, v4
	v_add_f32_e32 v15, v15, v18
	;; [unrolled: 1-line block ×13, first 2 shown]
	v_fma_f32 v0, v30, s4, -v43
	v_add_f32_e32 v0, v0, v46
	v_fma_f32 v4, v31, s6, -v56
	v_add_f32_e32 v0, v0, v4
	v_fma_f32 v4, v32, s1, -v57
	v_add_f32_e32 v0, v0, v4
	v_fma_f32 v4, v33, s0, -v58
	v_add_f32_e32 v0, v0, v4
	v_fma_f32 v4, v34, s5, -v59
	v_fmac_f32_e32 v60, 0xbf27a4f4, v35
	v_add_f32_e32 v20, v0, v4
	v_add_f32_e32 v0, v60, v45
	v_fmac_f32_e32 v61, 0xbe11bafb, v37
	v_add_f32_e32 v0, v0, v61
	v_fmac_f32_e32 v62, 0x3f575c64, v39
	v_add_f32_e32 v0, v0, v62
	v_fmac_f32_e32 v63, 0xbf75a155, v41
	v_add_f32_e32 v0, v0, v63
	v_fmac_f32_e32 v64, 0x3ed4b147, v44
	v_add_f32_e32 v19, v0, v64
	v_fma_f32 v0, v30, s6, -v65
	v_add_f32_e32 v0, v0, v46
	v_fma_f32 v4, v31, s0, -v66
	v_add_f32_e32 v0, v0, v4
	v_fma_f32 v4, v32, s5, -v67
	v_add_f32_e32 v0, v0, v4
	v_fma_f32 v4, v33, s1, -v68
	v_add_f32_e32 v0, v0, v4
	v_fma_f32 v4, v34, s4, -v69
	v_fmac_f32_e32 v70, 0xbe11bafb, v35
	v_add_f32_e32 v22, v0, v4
	v_add_f32_e32 v0, v70, v45
	v_fmac_f32_e32 v71, 0xbf75a155, v37
	v_add_f32_e32 v0, v0, v71
	v_fmac_f32_e32 v72, 0x3ed4b147, v39
	v_add_f32_e32 v0, v0, v72
	v_fmac_f32_e32 v73, 0x3f575c64, v41
	v_add_f32_e32 v0, v0, v73
	v_fmac_f32_e32 v74, 0xbf27a4f4, v44
	v_add_f32_e32 v21, v0, v74
	;; [unrolled: 20-line block ×4, first 2 shown]
	v_lshlrev_b64 v[0:1], 3, v[1:2]
	v_mov_b32_e32 v4, 0
	v_mov_b32_e32 v2, s3
	v_add_co_u32_e32 v27, vcc, s2, v0
	v_addc_co_u32_e32 v2, vcc, v2, v1, vcc
	v_lshlrev_b64 v[0:1], 3, v[3:4]
	v_add_co_u32_e32 v0, vcc, v27, v0
	v_addc_co_u32_e32 v1, vcc, v2, v1, vcc
	global_store_dwordx2 v[0:1], v[17:18], off
	global_store_dwordx2 v[0:1], v[15:16], off offset:104
	global_store_dwordx2 v[0:1], v[13:14], off offset:208
	;; [unrolled: 1-line block ×10, first 2 shown]
.LBB0_16:
	s_endpgm
	.section	.rodata,"a",@progbits
	.p2align	6, 0x0
	.amdhsa_kernel fft_rtc_fwd_len143_factors_13_11_wgs_182_tpt_13_sp_ip_CI_unitstride_sbrr_dirReg
		.amdhsa_group_segment_fixed_size 0
		.amdhsa_private_segment_fixed_size 0
		.amdhsa_kernarg_size 88
		.amdhsa_user_sgpr_count 6
		.amdhsa_user_sgpr_private_segment_buffer 1
		.amdhsa_user_sgpr_dispatch_ptr 0
		.amdhsa_user_sgpr_queue_ptr 0
		.amdhsa_user_sgpr_kernarg_segment_ptr 1
		.amdhsa_user_sgpr_dispatch_id 0
		.amdhsa_user_sgpr_flat_scratch_init 0
		.amdhsa_user_sgpr_private_segment_size 0
		.amdhsa_uses_dynamic_stack 0
		.amdhsa_system_sgpr_private_segment_wavefront_offset 0
		.amdhsa_system_sgpr_workgroup_id_x 1
		.amdhsa_system_sgpr_workgroup_id_y 0
		.amdhsa_system_sgpr_workgroup_id_z 0
		.amdhsa_system_sgpr_workgroup_info 0
		.amdhsa_system_vgpr_workitem_id 0
		.amdhsa_next_free_vgpr 112
		.amdhsa_next_free_sgpr 22
		.amdhsa_reserve_vcc 1
		.amdhsa_reserve_flat_scratch 0
		.amdhsa_float_round_mode_32 0
		.amdhsa_float_round_mode_16_64 0
		.amdhsa_float_denorm_mode_32 3
		.amdhsa_float_denorm_mode_16_64 3
		.amdhsa_dx10_clamp 1
		.amdhsa_ieee_mode 1
		.amdhsa_fp16_overflow 0
		.amdhsa_exception_fp_ieee_invalid_op 0
		.amdhsa_exception_fp_denorm_src 0
		.amdhsa_exception_fp_ieee_div_zero 0
		.amdhsa_exception_fp_ieee_overflow 0
		.amdhsa_exception_fp_ieee_underflow 0
		.amdhsa_exception_fp_ieee_inexact 0
		.amdhsa_exception_int_div_zero 0
	.end_amdhsa_kernel
	.text
.Lfunc_end0:
	.size	fft_rtc_fwd_len143_factors_13_11_wgs_182_tpt_13_sp_ip_CI_unitstride_sbrr_dirReg, .Lfunc_end0-fft_rtc_fwd_len143_factors_13_11_wgs_182_tpt_13_sp_ip_CI_unitstride_sbrr_dirReg
                                        ; -- End function
	.section	.AMDGPU.csdata,"",@progbits
; Kernel info:
; codeLenInByte = 6752
; NumSgprs: 26
; NumVgprs: 112
; ScratchSize: 0
; MemoryBound: 0
; FloatMode: 240
; IeeeMode: 1
; LDSByteSize: 0 bytes/workgroup (compile time only)
; SGPRBlocks: 3
; VGPRBlocks: 27
; NumSGPRsForWavesPerEU: 26
; NumVGPRsForWavesPerEU: 112
; Occupancy: 2
; WaveLimiterHint : 1
; COMPUTE_PGM_RSRC2:SCRATCH_EN: 0
; COMPUTE_PGM_RSRC2:USER_SGPR: 6
; COMPUTE_PGM_RSRC2:TRAP_HANDLER: 0
; COMPUTE_PGM_RSRC2:TGID_X_EN: 1
; COMPUTE_PGM_RSRC2:TGID_Y_EN: 0
; COMPUTE_PGM_RSRC2:TGID_Z_EN: 0
; COMPUTE_PGM_RSRC2:TIDIG_COMP_CNT: 0
	.type	__hip_cuid_e9ac728b25375e5b,@object ; @__hip_cuid_e9ac728b25375e5b
	.section	.bss,"aw",@nobits
	.globl	__hip_cuid_e9ac728b25375e5b
__hip_cuid_e9ac728b25375e5b:
	.byte	0                               ; 0x0
	.size	__hip_cuid_e9ac728b25375e5b, 1

	.ident	"AMD clang version 19.0.0git (https://github.com/RadeonOpenCompute/llvm-project roc-6.4.0 25133 c7fe45cf4b819c5991fe208aaa96edf142730f1d)"
	.section	".note.GNU-stack","",@progbits
	.addrsig
	.addrsig_sym __hip_cuid_e9ac728b25375e5b
	.amdgpu_metadata
---
amdhsa.kernels:
  - .args:
      - .actual_access:  read_only
        .address_space:  global
        .offset:         0
        .size:           8
        .value_kind:     global_buffer
      - .offset:         8
        .size:           8
        .value_kind:     by_value
      - .actual_access:  read_only
        .address_space:  global
        .offset:         16
        .size:           8
        .value_kind:     global_buffer
      - .actual_access:  read_only
        .address_space:  global
        .offset:         24
        .size:           8
        .value_kind:     global_buffer
      - .offset:         32
        .size:           8
        .value_kind:     by_value
      - .actual_access:  read_only
        .address_space:  global
        .offset:         40
        .size:           8
        .value_kind:     global_buffer
      - .actual_access:  read_only
        .address_space:  global
        .offset:         48
        .size:           8
        .value_kind:     global_buffer
      - .offset:         56
        .size:           4
        .value_kind:     by_value
      - .actual_access:  read_only
        .address_space:  global
        .offset:         64
        .size:           8
        .value_kind:     global_buffer
      - .actual_access:  read_only
        .address_space:  global
        .offset:         72
        .size:           8
        .value_kind:     global_buffer
      - .address_space:  global
        .offset:         80
        .size:           8
        .value_kind:     global_buffer
    .group_segment_fixed_size: 0
    .kernarg_segment_align: 8
    .kernarg_segment_size: 88
    .language:       OpenCL C
    .language_version:
      - 2
      - 0
    .max_flat_workgroup_size: 182
    .name:           fft_rtc_fwd_len143_factors_13_11_wgs_182_tpt_13_sp_ip_CI_unitstride_sbrr_dirReg
    .private_segment_fixed_size: 0
    .sgpr_count:     26
    .sgpr_spill_count: 0
    .symbol:         fft_rtc_fwd_len143_factors_13_11_wgs_182_tpt_13_sp_ip_CI_unitstride_sbrr_dirReg.kd
    .uniform_work_group_size: 1
    .uses_dynamic_stack: false
    .vgpr_count:     112
    .vgpr_spill_count: 0
    .wavefront_size: 64
amdhsa.target:   amdgcn-amd-amdhsa--gfx906
amdhsa.version:
  - 1
  - 2
...

	.end_amdgpu_metadata
